;; amdgpu-corpus repo=ROCm/rocFFT kind=compiled arch=gfx906 opt=O3
	.text
	.amdgcn_target "amdgcn-amd-amdhsa--gfx906"
	.amdhsa_code_object_version 6
	.protected	fft_rtc_fwd_len2916_factors_6_6_3_3_3_3_wgs_243_tpt_243_halfLds_sp_op_CI_CI_sbrr_dirReg ; -- Begin function fft_rtc_fwd_len2916_factors_6_6_3_3_3_3_wgs_243_tpt_243_halfLds_sp_op_CI_CI_sbrr_dirReg
	.globl	fft_rtc_fwd_len2916_factors_6_6_3_3_3_3_wgs_243_tpt_243_halfLds_sp_op_CI_CI_sbrr_dirReg
	.p2align	8
	.type	fft_rtc_fwd_len2916_factors_6_6_3_3_3_3_wgs_243_tpt_243_halfLds_sp_op_CI_CI_sbrr_dirReg,@function
fft_rtc_fwd_len2916_factors_6_6_3_3_3_3_wgs_243_tpt_243_halfLds_sp_op_CI_CI_sbrr_dirReg: ; @fft_rtc_fwd_len2916_factors_6_6_3_3_3_3_wgs_243_tpt_243_halfLds_sp_op_CI_CI_sbrr_dirReg
; %bb.0:
	s_load_dwordx4 s[16:19], s[4:5], 0x18
	s_load_dwordx4 s[12:15], s[4:5], 0x0
	;; [unrolled: 1-line block ×3, first 2 shown]
	v_mul_u32_u24_e32 v1, 0x10e, v0
	v_mov_b32_e32 v7, 0
	s_waitcnt lgkmcnt(0)
	s_load_dwordx2 s[20:21], s[16:17], 0x0
	s_load_dwordx2 s[2:3], s[18:19], 0x0
	v_cmp_lt_u64_e64 s[0:1], s[14:15], 2
	v_mov_b32_e32 v5, 0
	v_add_u32_sdwa v9, s6, v1 dst_sel:DWORD dst_unused:UNUSED_PAD src0_sel:DWORD src1_sel:WORD_1
	v_mov_b32_e32 v10, v7
	s_and_b64 vcc, exec, s[0:1]
	v_mov_b32_e32 v6, 0
	s_cbranch_vccnz .LBB0_8
; %bb.1:
	s_load_dwordx2 s[0:1], s[4:5], 0x10
	s_add_u32 s6, s18, 8
	s_addc_u32 s7, s19, 0
	s_add_u32 s22, s16, 8
	s_addc_u32 s23, s17, 0
	v_mov_b32_e32 v5, 0
	s_waitcnt lgkmcnt(0)
	s_add_u32 s24, s0, 8
	v_mov_b32_e32 v6, 0
	v_mov_b32_e32 v1, v5
	s_addc_u32 s25, s1, 0
	s_mov_b64 s[26:27], 1
	v_mov_b32_e32 v2, v6
.LBB0_2:                                ; =>This Inner Loop Header: Depth=1
	s_load_dwordx2 s[28:29], s[24:25], 0x0
                                        ; implicit-def: $vgpr3_vgpr4
	s_waitcnt lgkmcnt(0)
	v_or_b32_e32 v8, s29, v10
	v_cmp_ne_u64_e32 vcc, 0, v[7:8]
	s_and_saveexec_b64 s[0:1], vcc
	s_xor_b64 s[30:31], exec, s[0:1]
	s_cbranch_execz .LBB0_4
; %bb.3:                                ;   in Loop: Header=BB0_2 Depth=1
	v_cvt_f32_u32_e32 v3, s28
	v_cvt_f32_u32_e32 v4, s29
	s_sub_u32 s0, 0, s28
	s_subb_u32 s1, 0, s29
	v_mac_f32_e32 v3, 0x4f800000, v4
	v_rcp_f32_e32 v3, v3
	v_mul_f32_e32 v3, 0x5f7ffffc, v3
	v_mul_f32_e32 v4, 0x2f800000, v3
	v_trunc_f32_e32 v4, v4
	v_mac_f32_e32 v3, 0xcf800000, v4
	v_cvt_u32_f32_e32 v4, v4
	v_cvt_u32_f32_e32 v3, v3
	v_mul_lo_u32 v8, s0, v4
	v_mul_hi_u32 v11, s0, v3
	v_mul_lo_u32 v13, s1, v3
	v_mul_lo_u32 v12, s0, v3
	v_add_u32_e32 v8, v11, v8
	v_add_u32_e32 v8, v8, v13
	v_mul_hi_u32 v11, v3, v12
	v_mul_lo_u32 v13, v3, v8
	v_mul_hi_u32 v15, v3, v8
	v_mul_hi_u32 v14, v4, v12
	v_mul_lo_u32 v12, v4, v12
	v_mul_hi_u32 v16, v4, v8
	v_add_co_u32_e32 v11, vcc, v11, v13
	v_addc_co_u32_e32 v13, vcc, 0, v15, vcc
	v_mul_lo_u32 v8, v4, v8
	v_add_co_u32_e32 v11, vcc, v11, v12
	v_addc_co_u32_e32 v11, vcc, v13, v14, vcc
	v_addc_co_u32_e32 v12, vcc, 0, v16, vcc
	v_add_co_u32_e32 v8, vcc, v11, v8
	v_addc_co_u32_e32 v11, vcc, 0, v12, vcc
	v_add_co_u32_e32 v3, vcc, v3, v8
	v_addc_co_u32_e32 v4, vcc, v4, v11, vcc
	v_mul_lo_u32 v8, s0, v4
	v_mul_hi_u32 v11, s0, v3
	v_mul_lo_u32 v12, s1, v3
	v_mul_lo_u32 v13, s0, v3
	v_add_u32_e32 v8, v11, v8
	v_add_u32_e32 v8, v8, v12
	v_mul_lo_u32 v14, v3, v8
	v_mul_hi_u32 v15, v3, v13
	v_mul_hi_u32 v16, v3, v8
	;; [unrolled: 1-line block ×3, first 2 shown]
	v_mul_lo_u32 v13, v4, v13
	v_mul_hi_u32 v11, v4, v8
	v_add_co_u32_e32 v14, vcc, v15, v14
	v_addc_co_u32_e32 v15, vcc, 0, v16, vcc
	v_mul_lo_u32 v8, v4, v8
	v_add_co_u32_e32 v13, vcc, v14, v13
	v_addc_co_u32_e32 v12, vcc, v15, v12, vcc
	v_addc_co_u32_e32 v11, vcc, 0, v11, vcc
	v_add_co_u32_e32 v8, vcc, v12, v8
	v_addc_co_u32_e32 v11, vcc, 0, v11, vcc
	v_add_co_u32_e32 v8, vcc, v3, v8
	v_addc_co_u32_e32 v11, vcc, v4, v11, vcc
	v_mad_u64_u32 v[3:4], s[0:1], v9, v11, 0
	v_mul_hi_u32 v12, v9, v8
	v_add_co_u32_e32 v13, vcc, v12, v3
	v_addc_co_u32_e32 v14, vcc, 0, v4, vcc
	v_mad_u64_u32 v[3:4], s[0:1], v10, v8, 0
	v_mad_u64_u32 v[11:12], s[0:1], v10, v11, 0
	v_add_co_u32_e32 v3, vcc, v13, v3
	v_addc_co_u32_e32 v3, vcc, v14, v4, vcc
	v_addc_co_u32_e32 v4, vcc, 0, v12, vcc
	v_add_co_u32_e32 v8, vcc, v3, v11
	v_addc_co_u32_e32 v11, vcc, 0, v4, vcc
	v_mul_lo_u32 v12, s29, v8
	v_mul_lo_u32 v13, s28, v11
	v_mad_u64_u32 v[3:4], s[0:1], s28, v8, 0
	v_add3_u32 v4, v4, v13, v12
	v_sub_u32_e32 v12, v10, v4
	v_mov_b32_e32 v13, s29
	v_sub_co_u32_e32 v3, vcc, v9, v3
	v_subb_co_u32_e64 v12, s[0:1], v12, v13, vcc
	v_subrev_co_u32_e64 v13, s[0:1], s28, v3
	v_subbrev_co_u32_e64 v12, s[0:1], 0, v12, s[0:1]
	v_cmp_le_u32_e64 s[0:1], s29, v12
	v_cndmask_b32_e64 v14, 0, -1, s[0:1]
	v_cmp_le_u32_e64 s[0:1], s28, v13
	v_cndmask_b32_e64 v13, 0, -1, s[0:1]
	v_cmp_eq_u32_e64 s[0:1], s29, v12
	v_cndmask_b32_e64 v12, v14, v13, s[0:1]
	v_add_co_u32_e64 v13, s[0:1], 2, v8
	v_addc_co_u32_e64 v14, s[0:1], 0, v11, s[0:1]
	v_add_co_u32_e64 v15, s[0:1], 1, v8
	v_addc_co_u32_e64 v16, s[0:1], 0, v11, s[0:1]
	v_subb_co_u32_e32 v4, vcc, v10, v4, vcc
	v_cmp_ne_u32_e64 s[0:1], 0, v12
	v_cmp_le_u32_e32 vcc, s29, v4
	v_cndmask_b32_e64 v12, v16, v14, s[0:1]
	v_cndmask_b32_e64 v14, 0, -1, vcc
	v_cmp_le_u32_e32 vcc, s28, v3
	v_cndmask_b32_e64 v3, 0, -1, vcc
	v_cmp_eq_u32_e32 vcc, s29, v4
	v_cndmask_b32_e32 v3, v14, v3, vcc
	v_cmp_ne_u32_e32 vcc, 0, v3
	v_cndmask_b32_e64 v3, v15, v13, s[0:1]
	v_cndmask_b32_e32 v4, v11, v12, vcc
	v_cndmask_b32_e32 v3, v8, v3, vcc
.LBB0_4:                                ;   in Loop: Header=BB0_2 Depth=1
	s_andn2_saveexec_b64 s[0:1], s[30:31]
	s_cbranch_execz .LBB0_6
; %bb.5:                                ;   in Loop: Header=BB0_2 Depth=1
	v_cvt_f32_u32_e32 v3, s28
	s_sub_i32 s30, 0, s28
	v_rcp_iflag_f32_e32 v3, v3
	v_mul_f32_e32 v3, 0x4f7ffffe, v3
	v_cvt_u32_f32_e32 v3, v3
	v_mul_lo_u32 v4, s30, v3
	v_mul_hi_u32 v4, v3, v4
	v_add_u32_e32 v3, v3, v4
	v_mul_hi_u32 v3, v9, v3
	v_mul_lo_u32 v4, v3, s28
	v_add_u32_e32 v8, 1, v3
	v_sub_u32_e32 v4, v9, v4
	v_subrev_u32_e32 v11, s28, v4
	v_cmp_le_u32_e32 vcc, s28, v4
	v_cndmask_b32_e32 v4, v4, v11, vcc
	v_cndmask_b32_e32 v3, v3, v8, vcc
	v_add_u32_e32 v8, 1, v3
	v_cmp_le_u32_e32 vcc, s28, v4
	v_cndmask_b32_e32 v3, v3, v8, vcc
	v_mov_b32_e32 v4, v7
.LBB0_6:                                ;   in Loop: Header=BB0_2 Depth=1
	s_or_b64 exec, exec, s[0:1]
	v_mul_lo_u32 v8, v4, s28
	v_mul_lo_u32 v13, v3, s29
	v_mad_u64_u32 v[11:12], s[0:1], v3, s28, 0
	s_load_dwordx2 s[0:1], s[22:23], 0x0
	s_load_dwordx2 s[28:29], s[6:7], 0x0
	v_add3_u32 v8, v12, v13, v8
	v_sub_co_u32_e32 v9, vcc, v9, v11
	v_subb_co_u32_e32 v8, vcc, v10, v8, vcc
	s_waitcnt lgkmcnt(0)
	v_mul_lo_u32 v10, s0, v8
	v_mul_lo_u32 v11, s1, v9
	v_mad_u64_u32 v[5:6], s[0:1], s0, v9, v[5:6]
	v_mul_lo_u32 v8, s28, v8
	v_mul_lo_u32 v12, s29, v9
	v_mad_u64_u32 v[1:2], s[0:1], s28, v9, v[1:2]
	s_add_u32 s26, s26, 1
	s_addc_u32 s27, s27, 0
	s_add_u32 s6, s6, 8
	v_add3_u32 v2, v12, v2, v8
	s_addc_u32 s7, s7, 0
	v_mov_b32_e32 v8, s14
	s_add_u32 s22, s22, 8
	v_mov_b32_e32 v9, s15
	s_addc_u32 s23, s23, 0
	v_cmp_ge_u64_e32 vcc, s[26:27], v[8:9]
	s_add_u32 s24, s24, 8
	v_add3_u32 v6, v11, v6, v10
	s_addc_u32 s25, s25, 0
	s_cbranch_vccnz .LBB0_9
; %bb.7:                                ;   in Loop: Header=BB0_2 Depth=1
	v_mov_b32_e32 v10, v4
	v_mov_b32_e32 v9, v3
	s_branch .LBB0_2
.LBB0_8:
	v_mov_b32_e32 v1, v5
	v_mov_b32_e32 v3, v9
	;; [unrolled: 1-line block ×4, first 2 shown]
.LBB0_9:
	s_load_dwordx2 s[0:1], s[4:5], 0x28
	s_lshl_b64 s[14:15], s[14:15], 3
	s_add_u32 s4, s18, s14
	s_addc_u32 s5, s19, s15
                                        ; implicit-def: $vgpr30
                                        ; implicit-def: $vgpr32
                                        ; implicit-def: $vgpr31
                                        ; implicit-def: $vgpr33
	s_waitcnt lgkmcnt(0)
	v_cmp_gt_u64_e32 vcc, s[0:1], v[3:4]
	v_cmp_le_u64_e64 s[0:1], s[0:1], v[3:4]
	s_and_saveexec_b64 s[6:7], s[0:1]
	s_xor_b64 s[0:1], exec, s[6:7]
; %bb.10:
	s_mov_b32 s6, 0x10db20b
	v_mul_hi_u32 v5, v0, s6
	v_mul_u32_u24_e32 v5, 0xf3, v5
	v_sub_u32_e32 v30, v0, v5
	v_add_u32_e32 v32, 0xf3, v30
	v_add_u32_e32 v31, 0x1e6, v30
	;; [unrolled: 1-line block ×3, first 2 shown]
                                        ; implicit-def: $vgpr0
                                        ; implicit-def: $vgpr5_vgpr6
; %bb.11:
	s_or_saveexec_b64 s[6:7], s[0:1]
                                        ; implicit-def: $vgpr15
                                        ; implicit-def: $vgpr11
                                        ; implicit-def: $vgpr19
                                        ; implicit-def: $vgpr13
                                        ; implicit-def: $vgpr9
                                        ; implicit-def: $vgpr7
                                        ; implicit-def: $vgpr25
                                        ; implicit-def: $vgpr29
                                        ; implicit-def: $vgpr23
                                        ; implicit-def: $vgpr27
                                        ; implicit-def: $vgpr21
                                        ; implicit-def: $vgpr17
	s_xor_b64 exec, exec, s[6:7]
	s_cbranch_execz .LBB0_13
; %bb.12:
	s_add_u32 s0, s16, s14
	s_mov_b32 s14, 0x10db20b
	v_mul_hi_u32 v7, v0, s14
	s_addc_u32 s1, s17, s15
	s_load_dwordx2 s[0:1], s[0:1], 0x0
	v_lshlrev_b64 v[5:6], 3, v[5:6]
	v_mul_u32_u24_e32 v7, 0xf3, v7
	v_sub_u32_e32 v30, v0, v7
	v_mad_u64_u32 v[7:8], s[14:15], s20, v30, 0
	s_waitcnt lgkmcnt(0)
	v_mul_lo_u32 v13, s1, v3
	v_mul_lo_u32 v14, s0, v4
	v_mad_u64_u32 v[9:10], s[0:1], s0, v3, 0
	v_mov_b32_e32 v0, v8
	v_mad_u64_u32 v[11:12], s[0:1], s21, v30, v[0:1]
	v_add3_u32 v10, v10, v14, v13
	v_lshlrev_b64 v[9:10], 3, v[9:10]
	v_mov_b32_e32 v8, v11
	v_mov_b32_e32 v0, s9
	v_add_co_u32_e64 v11, s[0:1], s8, v9
	v_add_u32_e32 v31, 0x1e6, v30
	v_addc_co_u32_e64 v0, s[0:1], v0, v10, s[0:1]
	v_mad_u64_u32 v[9:10], s[0:1], s20, v31, 0
	v_add_co_u32_e64 v13, s[0:1], v11, v5
	v_addc_co_u32_e64 v14, s[0:1], v0, v6, s[0:1]
	v_mov_b32_e32 v0, v10
	v_lshlrev_b64 v[5:6], 3, v[7:8]
	v_mad_u64_u32 v[7:8], s[0:1], s21, v31, v[0:1]
	v_add_u32_e32 v8, 0x3cc, v30
	v_mad_u64_u32 v[11:12], s[0:1], s20, v8, 0
	v_add_co_u32_e64 v34, s[0:1], v13, v5
	v_mov_b32_e32 v10, v7
	v_mov_b32_e32 v0, v12
	v_addc_co_u32_e64 v35, s[0:1], v14, v6, s[0:1]
	v_lshlrev_b64 v[5:6], 3, v[9:10]
	v_mad_u64_u32 v[7:8], s[0:1], s21, v8, v[0:1]
	v_add_u32_e32 v10, 0x5b2, v30
	v_mad_u64_u32 v[8:9], s[0:1], s20, v10, 0
	v_add_co_u32_e64 v36, s[0:1], v13, v5
	v_mov_b32_e32 v0, v9
	v_addc_co_u32_e64 v37, s[0:1], v14, v6, s[0:1]
	v_mov_b32_e32 v12, v7
	v_mad_u64_u32 v[9:10], s[0:1], s21, v10, v[0:1]
	v_add_u32_e32 v7, 0x798, v30
	v_lshlrev_b64 v[5:6], 3, v[11:12]
	v_mad_u64_u32 v[10:11], s[0:1], s20, v7, 0
	v_add_co_u32_e64 v38, s[0:1], v13, v5
	v_mov_b32_e32 v0, v11
	v_addc_co_u32_e64 v39, s[0:1], v14, v6, s[0:1]
	v_lshlrev_b64 v[5:6], 3, v[8:9]
	v_mad_u64_u32 v[7:8], s[0:1], s21, v7, v[0:1]
	v_add_u32_e32 v12, 0x97e, v30
	v_mad_u64_u32 v[8:9], s[0:1], s20, v12, 0
	v_add_co_u32_e64 v40, s[0:1], v13, v5
	v_mov_b32_e32 v11, v7
	v_mov_b32_e32 v0, v9
	v_addc_co_u32_e64 v41, s[0:1], v14, v6, s[0:1]
	v_lshlrev_b64 v[5:6], 3, v[10:11]
	v_mad_u64_u32 v[9:10], s[0:1], s21, v12, v[0:1]
	v_add_u32_e32 v32, 0xf3, v30
	v_mad_u64_u32 v[10:11], s[0:1], s20, v32, 0
	v_add_co_u32_e64 v42, s[0:1], v13, v5
	v_mov_b32_e32 v0, v11
	v_addc_co_u32_e64 v43, s[0:1], v14, v6, s[0:1]
	v_lshlrev_b64 v[5:6], 3, v[8:9]
	v_mad_u64_u32 v[7:8], s[0:1], s21, v32, v[0:1]
	v_add_u32_e32 v33, 0x2d9, v30
	v_mad_u64_u32 v[8:9], s[0:1], s20, v33, 0
	v_add_co_u32_e64 v44, s[0:1], v13, v5
	v_mov_b32_e32 v11, v7
	v_mov_b32_e32 v0, v9
	v_addc_co_u32_e64 v45, s[0:1], v14, v6, s[0:1]
	v_lshlrev_b64 v[5:6], 3, v[10:11]
	v_mad_u64_u32 v[9:10], s[0:1], s21, v33, v[0:1]
	v_add_u32_e32 v7, 0x4bf, v30
	;; [unrolled: 15-line block ×3, first 2 shown]
	v_mad_u64_u32 v[10:11], s[0:1], s20, v7, 0
	v_add_co_u32_e64 v50, s[0:1], v13, v5
	v_mov_b32_e32 v0, v11
	v_addc_co_u32_e64 v51, s[0:1], v14, v6, s[0:1]
	v_lshlrev_b64 v[5:6], 3, v[8:9]
	v_mad_u64_u32 v[7:8], s[0:1], s21, v7, v[0:1]
	v_add_u32_e32 v12, 0xa71, v30
	v_mad_u64_u32 v[8:9], s[0:1], s20, v12, 0
	v_add_co_u32_e64 v52, s[0:1], v13, v5
	v_mov_b32_e32 v11, v7
	v_mov_b32_e32 v0, v9
	v_addc_co_u32_e64 v53, s[0:1], v14, v6, s[0:1]
	v_lshlrev_b64 v[5:6], 3, v[10:11]
	v_mad_u64_u32 v[9:10], s[0:1], s21, v12, v[0:1]
	v_add_co_u32_e64 v54, s[0:1], v13, v5
	v_addc_co_u32_e64 v55, s[0:1], v14, v6, s[0:1]
	v_lshlrev_b64 v[5:6], 3, v[8:9]
	v_add_co_u32_e64 v56, s[0:1], v13, v5
	v_addc_co_u32_e64 v57, s[0:1], v14, v6, s[0:1]
	global_load_dwordx2 v[16:17], v[34:35], off
	global_load_dwordx2 v[20:21], v[36:37], off
	;; [unrolled: 1-line block ×12, first 2 shown]
.LBB0_13:
	s_or_b64 exec, exec, s[6:7]
	s_waitcnt vmcnt(7)
	v_add_f32_e32 v5, v28, v26
	v_add_f32_e32 v0, v26, v16
	v_fmac_f32_e32 v16, -0.5, v5
	v_sub_f32_e32 v5, v27, v29
	v_mov_b32_e32 v34, v16
	v_fmac_f32_e32 v34, 0x3f5db3d7, v5
	v_fmac_f32_e32 v16, 0xbf5db3d7, v5
	v_add_f32_e32 v5, v27, v17
	v_add_f32_e32 v27, v29, v27
	v_fmac_f32_e32 v17, -0.5, v27
	v_sub_f32_e32 v26, v26, v28
	v_mov_b32_e32 v42, v17
	s_waitcnt vmcnt(6)
	v_add_f32_e32 v27, v24, v22
	v_fmac_f32_e32 v42, 0xbf5db3d7, v26
	v_fmac_f32_e32 v17, 0x3f5db3d7, v26
	v_add_f32_e32 v26, v22, v20
	v_fmac_f32_e32 v20, -0.5, v27
	v_add_f32_e32 v0, v28, v0
	v_sub_f32_e32 v27, v23, v25
	v_mov_b32_e32 v28, v20
	v_fmac_f32_e32 v28, 0x3f5db3d7, v27
	v_fmac_f32_e32 v20, 0xbf5db3d7, v27
	v_add_f32_e32 v27, v23, v21
	v_add_f32_e32 v23, v25, v23
	v_fmac_f32_e32 v21, -0.5, v23
	v_sub_f32_e32 v22, v22, v24
	v_add_f32_e32 v5, v29, v5
	v_add_f32_e32 v29, v25, v27
	v_mov_b32_e32 v25, v21
	v_fmac_f32_e32 v21, 0x3f5db3d7, v22
	v_mul_f32_e32 v35, -0.5, v20
	v_fmac_f32_e32 v35, 0x3f5db3d7, v21
	v_add_f32_e32 v26, v24, v26
	v_fmac_f32_e32 v25, 0xbf5db3d7, v22
	v_mul_f32_e32 v27, 0.5, v28
	v_add_f32_e32 v24, v16, v35
	v_mul_f32_e32 v43, 0xbf5db3d7, v28
	v_mul_f32_e32 v44, -0.5, v21
	v_sub_f32_e32 v21, v16, v35
	s_waitcnt vmcnt(1)
	v_add_f32_e32 v16, v10, v12
	v_add_f32_e32 v22, v26, v0
	v_fmac_f32_e32 v27, 0x3f5db3d7, v25
	v_fmac_f32_e32 v43, 0.5, v25
	v_sub_f32_e32 v25, v0, v26
	v_add_f32_e32 v0, v12, v6
	v_fmac_f32_e32 v6, -0.5, v16
	v_add_f32_e32 v23, v34, v27
	v_fmac_f32_e32 v44, 0xbf5db3d7, v20
	v_sub_f32_e32 v20, v34, v27
	v_sub_f32_e32 v16, v13, v11
	v_mov_b32_e32 v34, v6
	s_waitcnt vmcnt(0)
	v_add_f32_e32 v26, v14, v18
	v_fmac_f32_e32 v34, 0x3f5db3d7, v16
	v_fmac_f32_e32 v6, 0xbf5db3d7, v16
	v_add_f32_e32 v16, v18, v8
	v_fmac_f32_e32 v8, -0.5, v26
	v_sub_f32_e32 v26, v19, v15
	v_add_f32_e32 v46, v19, v9
	v_add_f32_e32 v19, v15, v19
	v_mov_b32_e32 v45, v8
	v_fmac_f32_e32 v9, -0.5, v19
	v_fmac_f32_e32 v45, 0x3f5db3d7, v26
	v_fmac_f32_e32 v8, 0xbf5db3d7, v26
	v_add_f32_e32 v26, v29, v5
	v_sub_f32_e32 v29, v5, v29
	v_add_f32_e32 v5, v14, v16
	v_sub_f32_e32 v14, v18, v14
	v_mov_b32_e32 v16, v9
	v_fmac_f32_e32 v16, 0xbf5db3d7, v14
	v_fmac_f32_e32 v9, 0x3f5db3d7, v14
	v_mul_u32_u24_e32 v14, 6, v30
	v_lshl_add_u32 v47, v14, 2, 0
	v_add_f32_e32 v0, v10, v0
	ds_write2_b64 v47, v[22:23], v[24:25] offset1:1
	v_mul_f32_e32 v14, 0.5, v45
	v_mul_f32_e32 v24, -0.5, v8
	v_add_f32_e32 v18, v5, v0
	v_fmac_f32_e32 v14, 0x3f5db3d7, v16
	v_fmac_f32_e32 v24, 0x3f5db3d7, v9
	v_sub_f32_e32 v23, v0, v5
	v_mul_i32_i24_e32 v0, 6, v32
	v_add_f32_e32 v19, v34, v14
	v_add_f32_e32 v22, v6, v24
	v_sub_f32_e32 v6, v6, v24
	v_lshl_add_u32 v0, v0, 2, 0
	s_load_dwordx2 s[4:5], s[4:5], 0x0
	v_add_f32_e32 v28, v17, v44
	v_sub_f32_e32 v5, v34, v14
	ds_write_b64 v47, v[20:21] offset:16
	ds_write2_b64 v0, v[18:19], v[22:23] offset1:1
	ds_write_b64 v0, v[5:6] offset:16
	v_sub_f32_e32 v6, v17, v44
	v_add_f32_e32 v17, v13, v7
	v_add_f32_e32 v13, v11, v13
	v_sub_f32_e32 v10, v12, v10
	v_add_f32_e32 v12, v15, v46
	v_fmac_f32_e32 v7, -0.5, v13
	v_mul_f32_e32 v15, 0xbf5db3d7, v45
	s_movk_i32 s0, 0xffec
	v_mov_b32_e32 v13, v7
	v_fmac_f32_e32 v15, 0.5, v16
	v_mul_f32_e32 v16, -0.5, v9
	v_add_f32_e32 v27, v42, v43
	v_mad_i32_i24 v18, v30, s0, v47
	v_mad_i32_i24 v14, v32, s0, v0
	v_sub_f32_e32 v5, v42, v43
	v_add_f32_e32 v11, v11, v17
	v_fmac_f32_e32 v13, 0xbf5db3d7, v10
	v_fmac_f32_e32 v7, 0x3f5db3d7, v10
	;; [unrolled: 1-line block ×3, first 2 shown]
	s_movk_i32 s0, 0xab
	s_waitcnt lgkmcnt(0)
	s_barrier
	ds_read_b32 v48, v18
	v_lshl_add_u32 v19, v31, 2, 0
	v_add_u32_e32 v49, 0xb40, v18
	v_add_u32_e32 v50, 0x12e0, v18
	;; [unrolled: 1-line block ×4, first 2 shown]
	ds_read_b32 v53, v14
	ds_read_b32 v54, v19
	ds_read_b32 v55, v18 offset:10692
	ds_read2_b32 v[34:35], v49 offset0:9 offset1:252
	ds_read2_b32 v[36:37], v50 offset0:7 offset1:250
	;; [unrolled: 1-line block ×4, first 2 shown]
	s_waitcnt lgkmcnt(0)
	s_barrier
	ds_write2_b64 v47, v[26:27], v[28:29] offset1:1
	v_add_f32_e32 v8, v12, v11
	v_add_f32_e32 v9, v13, v15
	v_sub_f32_e32 v11, v11, v12
	v_add_f32_e32 v10, v7, v16
	v_sub_f32_e32 v12, v13, v15
	v_sub_f32_e32 v13, v7, v16
	ds_write_b64 v47, v[5:6] offset:16
	ds_write2_b64 v0, v[8:9], v[10:11] offset1:1
	ds_write_b64 v0, v[12:13] offset:16
	v_mul_lo_u16_sdwa v5, v30, s0 dst_sel:DWORD dst_unused:UNUSED_PAD src0_sel:BYTE_0 src1_sel:DWORD
	v_lshrrev_b16_e32 v13, 10, v5
	v_mul_lo_u16_e32 v5, 6, v13
	v_sub_u16_e32 v17, v30, v5
	v_mov_b32_e32 v5, 5
	v_mul_u32_u24_sdwa v5, v17, v5 dst_sel:DWORD dst_unused:UNUSED_PAD src0_sel:BYTE_0 src1_sel:DWORD
	v_lshlrev_b32_e32 v42, 3, v5
	s_waitcnt lgkmcnt(0)
	s_barrier
	global_load_dwordx4 v[5:8], v42, s[12:13]
	s_mov_b32 s0, 0xaaab
	v_mul_u32_u24_sdwa v9, v32, s0 dst_sel:DWORD dst_unused:UNUSED_PAD src0_sel:WORD_0 src1_sel:DWORD
	v_lshrrev_b32_e32 v44, 18, v9
	v_mul_lo_u16_e32 v9, 6, v44
	v_sub_u16_e32 v45, v32, v9
	v_mul_u32_u24_e32 v9, 5, v45
	v_lshlrev_b32_e32 v43, 3, v9
	global_load_dwordx4 v[9:12], v43, s[12:13]
	global_load_dwordx4 v[20:23], v42, s[12:13] offset:16
	global_load_dwordx4 v[24:27], v43, s[12:13] offset:16
	global_load_dwordx2 v[15:16], v42, s[12:13] offset:32
	global_load_dwordx2 v[28:29], v43, s[12:13] offset:32
	ds_read_b32 v46, v19
	ds_read2_b32 v[42:43], v49 offset0:9 offset1:252
	ds_read_b32 v47, v14
	ds_read_b32 v49, v18 offset:10692
	v_mul_u32_u24_e32 v13, 0x90, v13
	s_mov_b32 s0, 0xe38f
	s_waitcnt vmcnt(5) lgkmcnt(3)
	v_mul_f32_e32 v56, v46, v6
	v_fma_f32 v56, v54, v5, -v56
	v_mul_f32_e32 v54, v54, v6
	v_fmac_f32_e32 v54, v46, v5
	s_waitcnt lgkmcnt(2)
	v_mul_f32_e32 v5, v43, v8
	v_fma_f32 v46, v35, v7, -v5
	ds_read2_b32 v[5:6], v50 offset0:7 offset1:250
	v_mul_f32_e32 v35, v35, v8
	v_fmac_f32_e32 v35, v43, v7
	s_waitcnt vmcnt(4)
	v_mul_f32_e32 v7, v42, v10
	v_fma_f32 v43, v34, v9, -v7
	v_mul_f32_e32 v10, v34, v10
	s_waitcnt lgkmcnt(0)
	v_mul_f32_e32 v7, v5, v12
	v_fmac_f32_e32 v10, v42, v9
	v_fma_f32 v9, v36, v11, -v7
	ds_read2_b32 v[7:8], v51 offset0:5 offset1:248
	v_mul_f32_e32 v12, v36, v12
	v_fmac_f32_e32 v12, v5, v11
	s_waitcnt vmcnt(3)
	v_mul_f32_e32 v5, v6, v21
	v_fma_f32 v11, v37, v20, -v5
	v_mul_f32_e32 v21, v37, v21
	s_waitcnt lgkmcnt(0)
	v_mul_f32_e32 v5, v8, v23
	v_fmac_f32_e32 v21, v6, v20
	v_fma_f32 v20, v39, v22, -v5
	ds_read2_b32 v[5:6], v52 offset0:11 offset1:254
	v_mul_f32_e32 v23, v39, v23
	v_fmac_f32_e32 v23, v8, v22
	s_waitcnt vmcnt(2)
	v_mul_f32_e32 v8, v7, v25
	v_mul_f32_e32 v22, v38, v25
	v_fma_f32 v8, v38, v24, -v8
	v_fmac_f32_e32 v22, v7, v24
	v_mul_f32_e32 v24, v40, v27
	s_waitcnt lgkmcnt(0)
	v_mul_f32_e32 v7, v5, v27
	v_fmac_f32_e32 v24, v5, v26
	s_waitcnt vmcnt(1)
	v_mul_f32_e32 v5, v6, v16
	v_mul_f32_e32 v16, v41, v16
	v_fmac_f32_e32 v16, v6, v15
	ds_read_b32 v6, v18
	v_add_f32_e32 v27, v46, v20
	v_fma_f32 v7, v40, v26, -v7
	v_fma_f32 v5, v41, v15, -v5
	s_waitcnt vmcnt(0)
	v_mul_f32_e32 v15, v49, v29
	v_mul_f32_e32 v25, v55, v29
	v_add_f32_e32 v26, v48, v46
	v_fmac_f32_e32 v48, -0.5, v27
	v_add_f32_e32 v27, v56, v11
	v_fma_f32 v15, v55, v28, -v15
	v_fmac_f32_e32 v25, v49, v28
	v_add_f32_e32 v28, v11, v5
	v_add_f32_e32 v27, v27, v5
	v_sub_f32_e32 v11, v11, v5
	v_mov_b32_e32 v5, 2
	v_fmac_f32_e32 v56, -0.5, v28
	v_add_f32_e32 v28, v54, v21
	v_add_f32_e32 v29, v21, v16
	v_lshlrev_b32_sdwa v17, v5, v17 dst_sel:DWORD dst_unused:UNUSED_PAD src0_sel:DWORD src1_sel:BYTE_0
	v_sub_f32_e32 v21, v21, v16
	v_fmac_f32_e32 v54, -0.5, v29
	v_add3_u32 v13, 0, v13, v17
	v_add_f32_e32 v17, v26, v20
	v_sub_f32_e32 v26, v35, v23
	v_mov_b32_e32 v29, v48
	v_mov_b32_e32 v34, v56
	v_fmac_f32_e32 v56, 0xbf5db3d7, v21
	v_fmac_f32_e32 v29, 0x3f5db3d7, v26
	v_mov_b32_e32 v36, v54
	v_add_f32_e32 v38, v17, v27
	v_fmac_f32_e32 v48, 0xbf5db3d7, v26
	s_waitcnt lgkmcnt(0)
	v_add_f32_e32 v26, v6, v35
	v_add_f32_e32 v42, v28, v16
	v_fmac_f32_e32 v54, 0x3f5db3d7, v11
	v_sub_f32_e32 v16, v17, v27
	v_mul_f32_e32 v17, -0.5, v56
	v_add_f32_e32 v26, v26, v23
	v_add_f32_e32 v23, v35, v23
	v_fmac_f32_e32 v17, 0x3f5db3d7, v54
	v_add_f32_e32 v27, v9, v7
	v_fmac_f32_e32 v34, 0x3f5db3d7, v21
	v_fmac_f32_e32 v6, -0.5, v23
	v_add_f32_e32 v21, v48, v17
	v_add_f32_e32 v23, v53, v9
	v_fmac_f32_e32 v53, -0.5, v27
	v_fmac_f32_e32 v36, 0xbf5db3d7, v11
	s_barrier
	ds_write2_b32 v13, v21, v16 offset0:12 offset1:18
	v_sub_f32_e32 v16, v12, v24
	v_mov_b32_e32 v21, v53
	v_add_f32_e32 v27, v8, v15
	v_mul_f32_e32 v37, 0x3f5db3d7, v36
	v_fmac_f32_e32 v21, 0x3f5db3d7, v16
	v_fmac_f32_e32 v53, 0xbf5db3d7, v16
	v_add_f32_e32 v16, v43, v8
	v_fmac_f32_e32 v43, -0.5, v27
	v_fmac_f32_e32 v37, 0.5, v34
	v_mul_f32_e32 v11, 0xbf5db3d7, v34
	v_sub_f32_e32 v27, v22, v25
	v_mov_b32_e32 v34, v43
	v_fmac_f32_e32 v34, 0x3f5db3d7, v27
	v_fmac_f32_e32 v43, 0xbf5db3d7, v27
	v_add_f32_e32 v27, v10, v22
	v_add_f32_e32 v22, v22, v25
	v_fmac_f32_e32 v10, -0.5, v22
	v_fmac_f32_e32 v11, 0.5, v36
	v_sub_f32_e32 v8, v8, v15
	v_mov_b32_e32 v36, v10
	v_sub_f32_e32 v35, v46, v20
	v_sub_f32_e32 v20, v29, v37
	v_sub_f32_e32 v17, v48, v17
	v_fmac_f32_e32 v36, 0xbf5db3d7, v8
	ds_write2_b32 v13, v20, v17 offset0:24 offset1:30
	v_mul_f32_e32 v17, 0x3f5db3d7, v36
	v_add_f32_e32 v16, v16, v15
	v_fmac_f32_e32 v10, 0x3f5db3d7, v8
	v_add_f32_e32 v8, v23, v7
	v_fmac_f32_e32 v17, 0.5, v34
	v_mul_f32_e32 v20, -0.5, v43
	v_mul_u32_u24_e32 v22, 0x90, v44
	v_lshlrev_b32_e32 v23, 2, v45
	v_mov_b32_e32 v44, v6
	v_add_f32_e32 v39, v29, v37
	v_add_f32_e32 v15, v8, v16
	v_sub_f32_e32 v8, v8, v16
	v_add_f32_e32 v16, v21, v17
	v_fmac_f32_e32 v20, 0x3f5db3d7, v10
	v_add3_u32 v37, 0, v22, v23
	v_fmac_f32_e32 v44, 0xbf5db3d7, v35
	ds_write2_b32 v13, v38, v39 offset1:6
	v_sub_f32_e32 v17, v21, v17
	v_add_f32_e32 v21, v53, v20
	v_sub_f32_e32 v20, v53, v20
	ds_write2_b32 v37, v15, v16 offset1:6
	ds_write2_b32 v37, v21, v8 offset0:12 offset1:18
	ds_write2_b32 v37, v17, v20 offset0:24 offset1:30
	v_add_f32_e32 v8, v26, v42
	v_add_f32_e32 v45, v44, v11
	s_waitcnt lgkmcnt(0)
	s_barrier
	v_add_u32_e32 v17, 0xf00, v18
	v_add_u32_e32 v20, 0x1e40, v18
	ds_read_b32 v46, v18
	ds_read_b32 v48, v19
	v_add_u32_e32 v22, 0x16c0, v18
	v_add_u32_e32 v23, 0x25e0, v18
	v_lshl_add_u32 v21, v33, 2, 0
	ds_read_b32 v49, v14
	ds_read_b32 v50, v21
	ds_read2_b32 v[15:16], v17 offset0:12 offset1:255
	ds_read2_b32 v[28:29], v20 offset0:8 offset1:251
	;; [unrolled: 1-line block ×4, first 2 shown]
	s_waitcnt lgkmcnt(0)
	s_barrier
	ds_write2_b32 v13, v8, v45 offset1:6
	v_mul_f32_e32 v8, -0.5, v54
	v_fmac_f32_e32 v6, 0x3f5db3d7, v35
	v_fmac_f32_e32 v8, 0xbf5db3d7, v56
	v_add_f32_e32 v35, v6, v8
	v_sub_f32_e32 v6, v6, v8
	v_add_f32_e32 v8, v47, v12
	v_add_f32_e32 v12, v12, v24
	v_fmac_f32_e32 v47, -0.5, v12
	v_sub_f32_e32 v7, v9, v7
	v_mov_b32_e32 v9, v47
	v_mul_f32_e32 v12, 0xbf5db3d7, v34
	v_mul_f32_e32 v10, -0.5, v10
	v_sub_f32_e32 v26, v26, v42
	v_sub_f32_e32 v11, v44, v11
	v_add_f32_e32 v8, v8, v24
	v_fmac_f32_e32 v9, 0xbf5db3d7, v7
	v_fmac_f32_e32 v47, 0x3f5db3d7, v7
	v_add_f32_e32 v7, v27, v25
	v_fmac_f32_e32 v12, 0.5, v36
	v_fmac_f32_e32 v10, 0xbf5db3d7, v43
	ds_write2_b32 v13, v35, v26 offset0:12 offset1:18
	v_add_f32_e32 v24, v8, v7
	v_sub_f32_e32 v7, v8, v7
	v_add_f32_e32 v8, v9, v12
	v_sub_f32_e32 v9, v9, v12
	;; [unrolled: 2-line block ×3, first 2 shown]
	ds_write2_b32 v13, v11, v6 offset0:24 offset1:30
	ds_write2_b32 v37, v24, v8 offset1:6
	ds_write2_b32 v37, v12, v7 offset0:12 offset1:18
	ds_write2_b32 v37, v9, v10 offset0:24 offset1:30
	v_mov_b32_e32 v6, 57
	v_mul_lo_u16_sdwa v6, v30, v6 dst_sel:DWORD dst_unused:UNUSED_PAD src0_sel:BYTE_0 src1_sel:DWORD
	v_lshrrev_b16_e32 v47, 11, v6
	v_mul_lo_u16_e32 v6, 36, v47
	v_sub_u16_e32 v51, v30, v6
	v_mov_b32_e32 v52, 4
	v_mul_u32_u24_sdwa v10, v32, s0 dst_sel:DWORD dst_unused:UNUSED_PAD src0_sel:WORD_0 src1_sel:DWORD
	v_lshlrev_b32_sdwa v6, v52, v51 dst_sel:DWORD dst_unused:UNUSED_PAD src0_sel:DWORD src1_sel:BYTE_0
	v_lshrrev_b32_e32 v53, 21, v10
	s_waitcnt lgkmcnt(0)
	s_barrier
	global_load_dwordx4 v[6:9], v6, s[12:13] offset:240
	v_mul_lo_u16_e32 v10, 36, v53
	v_sub_u16_e32 v54, v32, v10
	v_lshlrev_b32_e32 v10, 4, v54
	global_load_dwordx4 v[10:13], v10, s[12:13] offset:240
	v_mul_u32_u24_sdwa v24, v31, s0 dst_sel:DWORD dst_unused:UNUSED_PAD src0_sel:WORD_0 src1_sel:DWORD
	v_lshrrev_b32_e32 v55, 21, v24
	v_mul_lo_u16_e32 v24, 36, v55
	v_mul_u32_u24_sdwa v34, v33, s0 dst_sel:DWORD dst_unused:UNUSED_PAD src0_sel:WORD_0 src1_sel:DWORD
	v_sub_u16_e32 v56, v31, v24
	v_lshrrev_b32_e32 v57, 21, v34
	v_lshlrev_b32_e32 v24, 4, v56
	v_mul_lo_u16_e32 v34, 36, v57
	global_load_dwordx4 v[24:27], v24, s[12:13] offset:240
	v_sub_u16_e32 v58, v33, v34
	v_lshlrev_b32_e32 v34, 4, v58
	global_load_dwordx4 v[34:37], v34, s[12:13] offset:240
	ds_read2_b32 v[42:43], v17 offset0:12 offset1:255
	ds_read2_b32 v[44:45], v20 offset0:8 offset1:251
	s_waitcnt vmcnt(3) lgkmcnt(1)
	v_mul_f32_e32 v59, v42, v7
	v_fma_f32 v59, v15, v6, -v59
	v_mul_f32_e32 v15, v15, v7
	v_fmac_f32_e32 v15, v42, v6
	s_waitcnt lgkmcnt(0)
	v_mul_f32_e32 v6, v44, v9
	v_fma_f32 v42, v28, v8, -v6
	v_mul_f32_e32 v28, v28, v9
	s_waitcnt vmcnt(2)
	v_mul_f32_e32 v6, v43, v11
	v_fmac_f32_e32 v28, v44, v8
	v_fma_f32 v44, v16, v10, -v6
	v_mul_f32_e32 v11, v16, v11
	v_mul_f32_e32 v8, v45, v13
	ds_read2_b32 v[6:7], v22 offset0:2 offset1:245
	v_fmac_f32_e32 v11, v43, v10
	v_fma_f32 v10, v29, v12, -v8
	ds_read2_b32 v[8:9], v23 offset0:6 offset1:249
	v_mul_f32_e32 v13, v29, v13
	v_fmac_f32_e32 v13, v45, v12
	s_waitcnt vmcnt(1) lgkmcnt(1)
	v_mul_f32_e32 v12, v6, v25
	v_mul_f32_e32 v25, v38, v25
	v_fma_f32 v12, v38, v24, -v12
	v_fmac_f32_e32 v25, v6, v24
	s_waitcnt lgkmcnt(0)
	v_mul_f32_e32 v6, v8, v27
	v_mul_f32_e32 v24, v40, v27
	v_fma_f32 v6, v40, v26, -v6
	v_fmac_f32_e32 v24, v8, v26
	s_waitcnt vmcnt(0)
	v_mul_f32_e32 v26, v39, v35
	v_mul_f32_e32 v27, v41, v37
	v_add_f32_e32 v16, v59, v42
	v_mul_f32_e32 v8, v7, v35
	v_fmac_f32_e32 v26, v7, v34
	v_mul_f32_e32 v7, v9, v37
	v_fmac_f32_e32 v27, v9, v36
	v_add_f32_e32 v9, v46, v59
	v_fmac_f32_e32 v46, -0.5, v16
	v_mul_u32_u24_e32 v16, 0x1b0, v47
	v_lshlrev_b32_sdwa v29, v5, v51 dst_sel:DWORD dst_unused:UNUSED_PAD src0_sel:DWORD src1_sel:BYTE_0
	v_fma_f32 v8, v39, v34, -v8
	v_add3_u32 v34, 0, v16, v29
	v_sub_f32_e32 v16, v15, v28
	v_mov_b32_e32 v29, v46
	v_add_f32_e32 v9, v9, v42
	v_fmac_f32_e32 v29, 0x3f5db3d7, v16
	v_fmac_f32_e32 v46, 0xbf5db3d7, v16
	v_add_f32_e32 v16, v44, v10
	v_fma_f32 v7, v41, v36, -v7
	ds_read_b32 v35, v18
	ds_read_b32 v36, v19
	ds_read_b32 v37, v14
	ds_read_b32 v43, v21
	s_waitcnt lgkmcnt(0)
	s_barrier
	ds_write2_b32 v34, v9, v29 offset1:36
	v_add_f32_e32 v9, v49, v44
	v_fmac_f32_e32 v49, -0.5, v16
	v_mul_u32_u24_e32 v16, 0x1b0, v53
	v_lshlrev_b32_e32 v29, 2, v54
	v_add3_u32 v45, 0, v16, v29
	v_sub_f32_e32 v16, v11, v13
	v_mov_b32_e32 v29, v49
	v_add_f32_e32 v9, v9, v10
	v_fmac_f32_e32 v29, 0x3f5db3d7, v16
	v_fmac_f32_e32 v49, 0xbf5db3d7, v16
	v_add_f32_e32 v16, v12, v6
	ds_write_b32 v34, v46 offset:288
	ds_write2_b32 v45, v9, v29 offset1:36
	v_add_f32_e32 v9, v48, v12
	v_fmac_f32_e32 v48, -0.5, v16
	v_mul_u32_u24_e32 v16, 0x1b0, v55
	v_lshlrev_b32_e32 v29, 2, v56
	v_add3_u32 v46, 0, v16, v29
	v_sub_f32_e32 v16, v25, v24
	v_mov_b32_e32 v29, v48
	v_add_f32_e32 v9, v9, v6
	v_fmac_f32_e32 v29, 0x3f5db3d7, v16
	v_fmac_f32_e32 v48, 0xbf5db3d7, v16
	v_add_f32_e32 v16, v8, v7
	ds_write_b32 v45, v49 offset:288
	ds_write2_b32 v46, v9, v29 offset1:36
	v_add_f32_e32 v9, v50, v8
	v_fmac_f32_e32 v50, -0.5, v16
	v_mul_u32_u24_e32 v16, 0x1b0, v57
	v_lshlrev_b32_e32 v29, 2, v58
	v_add3_u32 v47, 0, v16, v29
	v_sub_f32_e32 v16, v26, v27
	v_mov_b32_e32 v29, v50
	v_add_f32_e32 v9, v9, v7
	v_fmac_f32_e32 v29, 0x3f5db3d7, v16
	ds_write_b32 v46, v48 offset:288
	ds_write2_b32 v47, v9, v29 offset1:36
	v_add_f32_e32 v9, v35, v15
	v_add_f32_e32 v15, v15, v28
	v_fmac_f32_e32 v35, -0.5, v15
	v_sub_f32_e32 v42, v59, v42
	v_mov_b32_e32 v48, v35
	v_add_f32_e32 v9, v9, v28
	v_fmac_f32_e32 v50, 0xbf5db3d7, v16
	v_fmac_f32_e32 v48, 0xbf5db3d7, v42
	ds_write_b32 v47, v50 offset:288
	s_waitcnt lgkmcnt(0)
	s_barrier
	ds_read_b32 v49, v18
	ds_read_b32 v50, v19
	ds_read_b32 v51, v14
	ds_read_b32 v53, v21
	ds_read2_b32 v[15:16], v17 offset0:12 offset1:255
	ds_read2_b32 v[28:29], v20 offset0:8 offset1:251
	;; [unrolled: 1-line block ×4, first 2 shown]
	s_waitcnt lgkmcnt(0)
	s_barrier
	ds_write2_b32 v34, v9, v48 offset1:36
	v_add_f32_e32 v9, v37, v11
	v_add_f32_e32 v11, v11, v13
	v_fmac_f32_e32 v37, -0.5, v11
	v_sub_f32_e32 v10, v44, v10
	v_mov_b32_e32 v11, v37
	v_fmac_f32_e32 v35, 0x3f5db3d7, v42
	v_add_f32_e32 v9, v9, v13
	v_fmac_f32_e32 v11, 0xbf5db3d7, v10
	v_fmac_f32_e32 v37, 0x3f5db3d7, v10
	v_add_f32_e32 v10, v25, v24
	ds_write_b32 v34, v35 offset:288
	ds_write2_b32 v45, v9, v11 offset1:36
	v_add_f32_e32 v9, v36, v25
	v_fmac_f32_e32 v36, -0.5, v10
	v_sub_f32_e32 v6, v12, v6
	v_mov_b32_e32 v10, v36
	v_add_f32_e32 v11, v26, v27
	v_fmac_f32_e32 v10, 0xbf5db3d7, v6
	v_fmac_f32_e32 v36, 0x3f5db3d7, v6
	v_add_f32_e32 v6, v43, v26
	v_fmac_f32_e32 v43, -0.5, v11
	v_add_f32_e32 v9, v9, v24
	v_add_f32_e32 v6, v6, v27
	v_sub_f32_e32 v7, v8, v7
	v_mov_b32_e32 v8, v43
	ds_write_b32 v45, v37 offset:288
	v_fmac_f32_e32 v8, 0xbf5db3d7, v7
	v_fmac_f32_e32 v43, 0x3f5db3d7, v7
	ds_write2_b32 v46, v9, v10 offset1:36
	ds_write_b32 v46, v36 offset:288
	ds_write2_b32 v47, v6, v8 offset1:36
	ds_write_b32 v47, v43 offset:288
	v_mov_b32_e32 v6, 19
	v_mul_lo_u16_sdwa v6, v30, v6 dst_sel:DWORD dst_unused:UNUSED_PAD src0_sel:BYTE_0 src1_sel:DWORD
	v_lshrrev_b16_e32 v46, 11, v6
	v_mul_lo_u16_e32 v6, 0x6c, v46
	v_lshrrev_b16_e32 v10, 2, v32
	v_sub_u16_e32 v47, v30, v6
	v_mul_u32_u24_e32 v10, 0x4bdb, v10
	v_lshlrev_b32_sdwa v6, v52, v47 dst_sel:DWORD dst_unused:UNUSED_PAD src0_sel:DWORD src1_sel:BYTE_0
	v_lshrrev_b32_e32 v48, 19, v10
	s_waitcnt lgkmcnt(0)
	s_barrier
	global_load_dwordx4 v[6:9], v6, s[12:13] offset:816
	v_mul_lo_u16_e32 v10, 0x6c, v48
	v_sub_u16_e32 v52, v32, v10
	v_lshlrev_b32_e32 v10, 4, v52
	global_load_dwordx4 v[10:13], v10, s[12:13] offset:816
	v_lshrrev_b16_e32 v24, 2, v31
	v_mul_u32_u24_e32 v24, 0x4bdb, v24
	v_lshrrev_b32_e32 v54, 19, v24
	v_lshrrev_b16_e32 v34, 2, v33
	v_mul_lo_u16_e32 v24, 0x6c, v54
	v_mul_u32_u24_e32 v34, 0x4bdb, v34
	v_sub_u16_e32 v55, v31, v24
	v_lshrrev_b32_e32 v56, 19, v34
	v_lshlrev_b32_e32 v24, 4, v55
	v_mul_lo_u16_e32 v34, 0x6c, v56
	global_load_dwordx4 v[24:27], v24, s[12:13] offset:816
	v_sub_u16_e32 v57, v33, v34
	v_lshlrev_b32_e32 v34, 4, v57
	global_load_dwordx4 v[34:37], v34, s[12:13] offset:816
	ds_read2_b32 v[42:43], v17 offset0:12 offset1:255
	ds_read2_b32 v[44:45], v20 offset0:8 offset1:251
	v_lshlrev_b32_sdwa v5, v5, v47 dst_sel:DWORD dst_unused:UNUSED_PAD src0_sel:DWORD src1_sel:BYTE_0
	s_waitcnt vmcnt(3) lgkmcnt(1)
	v_mul_f32_e32 v58, v42, v7
	v_fma_f32 v58, v15, v6, -v58
	v_mul_f32_e32 v15, v15, v7
	v_fmac_f32_e32 v15, v42, v6
	s_waitcnt lgkmcnt(0)
	v_mul_f32_e32 v6, v44, v9
	v_fma_f32 v42, v28, v8, -v6
	v_mul_f32_e32 v28, v28, v9
	s_waitcnt vmcnt(2)
	v_mul_f32_e32 v6, v43, v11
	v_fmac_f32_e32 v28, v44, v8
	v_fma_f32 v59, v16, v10, -v6
	v_mul_f32_e32 v11, v16, v11
	v_mul_f32_e32 v8, v45, v13
	ds_read2_b32 v[6:7], v22 offset0:2 offset1:245
	v_fmac_f32_e32 v11, v43, v10
	v_fma_f32 v10, v29, v12, -v8
	ds_read2_b32 v[8:9], v23 offset0:6 offset1:249
	v_mul_f32_e32 v13, v29, v13
	v_fmac_f32_e32 v13, v45, v12
	s_waitcnt vmcnt(1) lgkmcnt(1)
	v_mul_f32_e32 v12, v6, v25
	v_mul_f32_e32 v25, v38, v25
	v_fma_f32 v12, v38, v24, -v12
	v_fmac_f32_e32 v25, v6, v24
	s_waitcnt lgkmcnt(0)
	v_mul_f32_e32 v6, v8, v27
	v_mul_f32_e32 v24, v40, v27
	v_fma_f32 v6, v40, v26, -v6
	v_fmac_f32_e32 v24, v8, v26
	s_waitcnt vmcnt(0)
	v_mul_f32_e32 v26, v39, v35
	v_mul_f32_e32 v27, v41, v37
	v_add_f32_e32 v16, v58, v42
	v_mul_f32_e32 v8, v7, v35
	v_fmac_f32_e32 v26, v7, v34
	v_mul_f32_e32 v7, v9, v37
	v_fmac_f32_e32 v27, v9, v36
	v_add_f32_e32 v9, v49, v58
	v_fmac_f32_e32 v49, -0.5, v16
	v_mul_u32_u24_e32 v16, 0x510, v46
	v_add3_u32 v5, 0, v16, v5
	v_sub_f32_e32 v16, v15, v28
	v_mov_b32_e32 v29, v49
	v_add_f32_e32 v9, v9, v42
	v_fmac_f32_e32 v29, 0x3f5db3d7, v16
	v_fmac_f32_e32 v49, 0xbf5db3d7, v16
	v_add_f32_e32 v16, v59, v10
	v_fma_f32 v8, v39, v34, -v8
	v_fma_f32 v7, v41, v36, -v7
	ds_read_b32 v34, v18
	ds_read_b32 v35, v19
	;; [unrolled: 1-line block ×4, first 2 shown]
	s_waitcnt lgkmcnt(0)
	s_barrier
	ds_write2_b32 v5, v9, v29 offset1:108
	v_add_f32_e32 v9, v51, v59
	v_fmac_f32_e32 v51, -0.5, v16
	v_mul_u32_u24_e32 v16, 0x510, v48
	v_lshlrev_b32_e32 v29, 2, v52
	v_add3_u32 v38, 0, v16, v29
	v_sub_f32_e32 v16, v11, v13
	v_mov_b32_e32 v29, v51
	v_add_f32_e32 v9, v9, v10
	v_fmac_f32_e32 v29, 0x3f5db3d7, v16
	v_fmac_f32_e32 v51, 0xbf5db3d7, v16
	v_add_f32_e32 v16, v12, v6
	ds_write_b32 v5, v49 offset:864
	ds_write2_b32 v38, v9, v29 offset1:108
	v_add_f32_e32 v9, v50, v12
	v_fmac_f32_e32 v50, -0.5, v16
	v_mul_u32_u24_e32 v16, 0x510, v54
	v_lshlrev_b32_e32 v29, 2, v55
	v_add3_u32 v39, 0, v16, v29
	v_sub_f32_e32 v16, v25, v24
	v_mov_b32_e32 v29, v50
	v_add_f32_e32 v9, v9, v6
	v_fmac_f32_e32 v29, 0x3f5db3d7, v16
	v_fmac_f32_e32 v50, 0xbf5db3d7, v16
	v_add_f32_e32 v16, v8, v7
	ds_write_b32 v38, v51 offset:864
	ds_write2_b32 v39, v9, v29 offset1:108
	v_add_f32_e32 v9, v53, v8
	v_fmac_f32_e32 v53, -0.5, v16
	v_mul_u32_u24_e32 v16, 0x510, v56
	v_lshlrev_b32_e32 v29, 2, v57
	v_add3_u32 v40, 0, v16, v29
	v_sub_f32_e32 v16, v26, v27
	v_mov_b32_e32 v29, v53
	v_add_f32_e32 v9, v9, v7
	v_fmac_f32_e32 v29, 0x3f5db3d7, v16
	ds_write_b32 v39, v50 offset:864
	ds_write2_b32 v40, v9, v29 offset1:108
	v_add_f32_e32 v9, v34, v15
	v_add_f32_e32 v15, v15, v28
	v_fmac_f32_e32 v34, -0.5, v15
	v_sub_f32_e32 v41, v58, v42
	v_mov_b32_e32 v46, v34
	v_add_f32_e32 v9, v9, v28
	v_fmac_f32_e32 v53, 0xbf5db3d7, v16
	v_fmac_f32_e32 v46, 0xbf5db3d7, v41
	ds_write_b32 v40, v53 offset:864
	s_waitcnt lgkmcnt(0)
	s_barrier
	ds_read_b32 v50, v18
	ds_read_b32 v51, v19
	;; [unrolled: 1-line block ×4, first 2 shown]
	ds_read2_b32 v[15:16], v17 offset0:12 offset1:255
	ds_read2_b32 v[28:29], v20 offset0:8 offset1:251
	;; [unrolled: 1-line block ×4, first 2 shown]
	s_waitcnt lgkmcnt(0)
	s_barrier
	ds_write2_b32 v5, v9, v46 offset1:108
	v_fmac_f32_e32 v34, 0x3f5db3d7, v41
	v_add_f32_e32 v9, v11, v13
	ds_write_b32 v5, v34 offset:864
	v_add_f32_e32 v5, v36, v11
	v_fmac_f32_e32 v36, -0.5, v9
	v_sub_f32_e32 v9, v59, v10
	v_mov_b32_e32 v10, v36
	v_add_f32_e32 v5, v5, v13
	v_fmac_f32_e32 v10, 0xbf5db3d7, v9
	v_fmac_f32_e32 v36, 0x3f5db3d7, v9
	v_add_f32_e32 v9, v25, v24
	ds_write2_b32 v38, v5, v10 offset1:108
	v_add_f32_e32 v5, v35, v25
	v_fmac_f32_e32 v35, -0.5, v9
	v_sub_f32_e32 v6, v12, v6
	v_mov_b32_e32 v9, v35
	v_add_f32_e32 v10, v26, v27
	v_fmac_f32_e32 v9, 0xbf5db3d7, v6
	v_fmac_f32_e32 v35, 0x3f5db3d7, v6
	v_add_f32_e32 v6, v37, v26
	v_fmac_f32_e32 v37, -0.5, v10
	v_sub_f32_e32 v7, v8, v7
	v_mov_b32_e32 v8, v37
	v_fmac_f32_e32 v8, 0xbf5db3d7, v7
	v_add_f32_e32 v5, v5, v24
	v_add_f32_e32 v6, v6, v27
	v_fmac_f32_e32 v37, 0x3f5db3d7, v7
	ds_write_b32 v38, v36 offset:864
	ds_write2_b32 v39, v5, v9 offset1:108
	ds_write_b32 v39, v35 offset:864
	ds_write2_b32 v40, v6, v8 offset1:108
	ds_write_b32 v40, v37 offset:864
	v_lshlrev_b32_e32 v7, 1, v30
	v_mov_b32_e32 v8, 0
	v_lshlrev_b64 v[5:6], 3, v[7:8]
	v_mov_b32_e32 v13, s13
	v_add_co_u32_e64 v5, s[0:1], s12, v5
	v_addc_co_u32_e64 v6, s[0:1], v13, v6, s[0:1]
	s_movk_i32 s0, 0x51
	v_add_u32_e32 v7, 0xffffffaf, v30
	v_cmp_gt_u32_e64 s[0:1], s0, v30
	v_cndmask_b32_e64 v54, v7, v32, s[0:1]
	v_lshlrev_b32_e32 v7, 1, v54
	v_lshlrev_b64 v[24:25], 3, v[7:8]
	s_waitcnt lgkmcnt(0)
	s_barrier
	global_load_dwordx4 v[9:12], v[5:6], off offset:2544
	v_add_co_u32_e64 v24, s[0:1], s12, v24
	v_addc_co_u32_e64 v25, s[0:1], v13, v25, s[0:1]
	global_load_dwordx4 v[24:27], v[24:25], off offset:2544
	s_movk_i32 s0, 0x6523
	v_mul_u32_u24_sdwa v7, v31, s0 dst_sel:DWORD dst_unused:UNUSED_PAD src0_sel:WORD_0 src1_sel:DWORD
	v_lshrrev_b32_e32 v7, 23, v7
	v_mul_lo_u16_e32 v13, 0x144, v7
	v_mul_u32_u24_sdwa v38, v33, s0 dst_sel:DWORD dst_unused:UNUSED_PAD src0_sel:WORD_0 src1_sel:DWORD
	v_sub_u16_e32 v13, v31, v13
	v_lshrrev_b32_e32 v38, 23, v38
	v_lshlrev_b32_e32 v34, 4, v13
	v_mul_lo_u16_e32 v38, 0x144, v38
	global_load_dwordx4 v[34:37], v34, s[12:13] offset:2544
	v_sub_u16_e32 v55, v33, v38
	v_lshlrev_b32_e32 v38, 4, v55
	global_load_dwordx4 v[38:41], v38, s[12:13] offset:2544
	ds_read2_b32 v[46:47], v17 offset0:12 offset1:255
	ds_read2_b32 v[48:49], v20 offset0:8 offset1:251
	s_movk_i32 s0, 0x50
	v_cmp_lt_u32_e64 s[0:1], s0, v30
	v_mul_u32_u24_e32 v7, 0xf30, v7
	s_waitcnt vmcnt(3) lgkmcnt(1)
	v_mul_f32_e32 v56, v46, v10
	v_fma_f32 v56, v15, v9, -v56
	v_mul_f32_e32 v15, v15, v10
	v_fmac_f32_e32 v15, v46, v9
	s_waitcnt lgkmcnt(0)
	v_mul_f32_e32 v9, v48, v12
	v_fma_f32 v46, v28, v11, -v9
	v_mul_f32_e32 v28, v28, v12
	s_waitcnt vmcnt(2)
	v_mul_f32_e32 v9, v47, v25
	v_fmac_f32_e32 v28, v48, v11
	v_fma_f32 v48, v16, v24, -v9
	v_mul_f32_e32 v16, v16, v25
	v_mul_f32_e32 v11, v49, v27
	ds_read2_b32 v[9:10], v22 offset0:2 offset1:245
	v_fmac_f32_e32 v16, v47, v24
	v_fma_f32 v24, v29, v26, -v11
	ds_read2_b32 v[11:12], v23 offset0:6 offset1:249
	v_mul_f32_e32 v25, v29, v27
	v_fmac_f32_e32 v25, v49, v26
	s_waitcnt vmcnt(1) lgkmcnt(1)
	v_mul_f32_e32 v26, v9, v35
	v_mul_f32_e32 v35, v42, v35
	v_fmac_f32_e32 v35, v9, v34
	s_waitcnt lgkmcnt(0)
	v_mul_f32_e32 v9, v11, v37
	v_fma_f32 v29, v42, v34, -v26
	v_fma_f32 v34, v44, v36, -v9
	v_mul_f32_e32 v37, v44, v37
	s_waitcnt vmcnt(0)
	v_mul_f32_e32 v9, v10, v39
	v_fmac_f32_e32 v37, v11, v36
	v_fma_f32 v36, v43, v38, -v9
	v_mul_f32_e32 v39, v43, v39
	v_mul_f32_e32 v9, v12, v41
	;; [unrolled: 1-line block ×3, first 2 shown]
	v_fmac_f32_e32 v39, v10, v38
	v_fma_f32 v38, v45, v40, -v9
	v_fmac_f32_e32 v41, v12, v40
	ds_read_b32 v40, v18
	v_add_f32_e32 v10, v56, v46
	v_add_f32_e32 v9, v50, v56
	v_fmac_f32_e32 v50, -0.5, v10
	v_sub_f32_e32 v10, v15, v28
	v_mov_b32_e32 v11, v50
	v_fmac_f32_e32 v11, 0x3f5db3d7, v10
	v_fmac_f32_e32 v50, 0xbf5db3d7, v10
	s_waitcnt lgkmcnt(0)
	v_add_f32_e32 v10, v40, v15
	ds_read_b32 v42, v19
	ds_read_b32 v43, v21
	v_add_f32_e32 v44, v10, v28
	v_add_f32_e32 v10, v15, v28
	ds_read_b32 v45, v14
	v_fmac_f32_e32 v40, -0.5, v10
	v_sub_f32_e32 v10, v56, v46
	v_mov_b32_e32 v28, v40
	v_add_f32_e32 v12, v48, v24
	v_fmac_f32_e32 v28, 0xbf5db3d7, v10
	v_fmac_f32_e32 v40, 0x3f5db3d7, v10
	v_add_f32_e32 v10, v52, v48
	v_fmac_f32_e32 v52, -0.5, v12
	v_sub_f32_e32 v12, v16, v25
	v_mov_b32_e32 v15, v52
	v_fmac_f32_e32 v15, 0x3f5db3d7, v12
	v_fmac_f32_e32 v52, 0xbf5db3d7, v12
	s_waitcnt lgkmcnt(0)
	v_add_f32_e32 v12, v45, v16
	v_add_f32_e32 v9, v9, v46
	v_add_f32_e32 v46, v12, v25
	v_add_f32_e32 v12, v16, v25
	v_fmac_f32_e32 v45, -0.5, v12
	v_sub_f32_e32 v12, v48, v24
	v_mov_b32_e32 v47, v45
	v_add_f32_e32 v16, v29, v34
	v_fmac_f32_e32 v47, 0xbf5db3d7, v12
	v_fmac_f32_e32 v45, 0x3f5db3d7, v12
	v_add_f32_e32 v12, v51, v29
	v_fmac_f32_e32 v51, -0.5, v16
	s_barrier
	ds_write_b32 v18, v9
	ds_write_b32 v18, v11 offset:1296
	ds_write_b32 v18, v50 offset:2592
	v_mov_b32_e32 v9, 0xf30
	v_add_f32_e32 v10, v10, v24
	v_sub_f32_e32 v16, v35, v37
	v_mov_b32_e32 v24, v51
	v_add_f32_e32 v25, v36, v38
	v_cndmask_b32_e64 v9, 0, v9, s[0:1]
	v_lshlrev_b32_e32 v11, 2, v54
	v_fmac_f32_e32 v24, 0x3f5db3d7, v16
	v_fmac_f32_e32 v51, 0xbf5db3d7, v16
	v_add_f32_e32 v16, v53, v36
	v_fmac_f32_e32 v53, -0.5, v25
	v_add3_u32 v48, 0, v9, v11
	v_lshlrev_b32_e32 v9, 2, v13
	v_sub_f32_e32 v25, v39, v41
	v_mov_b32_e32 v26, v53
	v_add3_u32 v7, 0, v7, v9
	v_add_f32_e32 v9, v12, v34
	v_fmac_f32_e32 v26, 0x3f5db3d7, v25
	ds_write_b32 v48, v10
	ds_write_b32 v48, v15 offset:1296
	ds_write_b32 v48, v52 offset:2592
	ds_write_b32 v7, v9
	ds_write_b32 v7, v24 offset:1296
	ds_write_b32 v7, v51 offset:2592
	v_add_f32_e32 v9, v16, v38
	v_lshl_add_u32 v49, v55, 2, 0
	v_fmac_f32_e32 v53, 0xbf5db3d7, v25
	ds_write_b32 v49, v9 offset:7776
	ds_write_b32 v49, v26 offset:9072
	;; [unrolled: 1-line block ×3, first 2 shown]
	s_waitcnt lgkmcnt(0)
	s_barrier
	ds_read_b32 v24, v18
	ds_read_b32 v26, v19
	;; [unrolled: 1-line block ×4, first 2 shown]
	ds_read2_b32 v[11:12], v17 offset0:12 offset1:255
	ds_read2_b32 v[9:10], v20 offset0:8 offset1:251
	;; [unrolled: 1-line block ×4, first 2 shown]
	s_waitcnt lgkmcnt(0)
	s_barrier
	ds_write_b32 v18, v44
	ds_write_b32 v18, v28 offset:1296
	ds_write_b32 v18, v40 offset:2592
	ds_write_b32 v48, v46
	ds_write_b32 v48, v47 offset:1296
	ds_write_b32 v48, v45 offset:2592
	v_add_f32_e32 v28, v42, v35
	v_add_f32_e32 v35, v35, v37
	v_fmac_f32_e32 v42, -0.5, v35
	v_sub_f32_e32 v29, v29, v34
	v_mov_b32_e32 v34, v42
	v_add_f32_e32 v35, v39, v41
	v_fmac_f32_e32 v34, 0xbf5db3d7, v29
	v_fmac_f32_e32 v42, 0x3f5db3d7, v29
	v_add_f32_e32 v29, v43, v39
	v_fmac_f32_e32 v43, -0.5, v35
	v_add_f32_e32 v28, v28, v37
	v_sub_f32_e32 v35, v36, v38
	v_mov_b32_e32 v36, v43
	v_add_f32_e32 v29, v29, v41
	v_fmac_f32_e32 v36, 0xbf5db3d7, v35
	v_fmac_f32_e32 v43, 0x3f5db3d7, v35
	ds_write_b32 v7, v28
	ds_write_b32 v7, v34 offset:1296
	ds_write_b32 v7, v42 offset:2592
	;; [unrolled: 1-line block ×5, first 2 shown]
	s_waitcnt lgkmcnt(0)
	s_barrier
	s_and_saveexec_b64 s[0:1], vcc
	s_cbranch_execz .LBB0_15
; %bb.14:
	v_lshlrev_b32_e32 v7, 1, v33
	v_lshlrev_b64 v[28:29], 3, v[7:8]
	v_mov_b32_e32 v41, s13
	v_add_co_u32_e32 v7, vcc, s12, v28
	v_addc_co_u32_e32 v29, vcc, v41, v29, vcc
	v_add_co_u32_e32 v28, vcc, 0x1000, v7
	v_addc_co_u32_e32 v29, vcc, 0, v29, vcc
	v_lshlrev_b32_e32 v7, 1, v31
	global_load_dwordx4 v[33:36], v[28:29], off offset:3632
	v_lshlrev_b64 v[28:29], 3, v[7:8]
	s_movk_i32 s6, 0x1000
	v_add_co_u32_e32 v7, vcc, s12, v28
	v_addc_co_u32_e32 v29, vcc, v41, v29, vcc
	v_add_co_u32_e32 v28, vcc, s6, v7
	v_addc_co_u32_e32 v29, vcc, 0, v29, vcc
	global_load_dwordx4 v[37:40], v[28:29], off offset:3632
	v_lshlrev_b32_e32 v7, 1, v32
	v_lshlrev_b64 v[7:8], 3, v[7:8]
	v_mul_lo_u32 v31, s5, v3
	v_add_co_u32_e32 v7, vcc, s12, v7
	v_addc_co_u32_e32 v8, vcc, v41, v8, vcc
	v_add_co_u32_e32 v7, vcc, s6, v7
	v_addc_co_u32_e32 v8, vcc, 0, v8, vcc
	global_load_dwordx4 v[41:44], v[7:8], off offset:3632
	v_mad_u64_u32 v[7:8], s[0:1], s4, v3, 0
	v_add_co_u32_e32 v3, vcc, s6, v5
	v_mul_i32_i24_e32 v45, 0xffffffec, v32
	v_mul_lo_u32 v32, s4, v4
	v_addc_co_u32_e32 v4, vcc, 0, v6, vcc
	ds_read2_b32 v[28:29], v22 offset0:2 offset1:245
	ds_read2_b32 v[22:23], v23 offset0:6 offset1:249
	global_load_dwordx4 v[3:6], v[3:4], off offset:3632
	ds_read_b32 v21, v21
	ds_read_b32 v19, v19
	ds_read_b32 v46, v18
	v_add3_u32 v8, v8, v32, v31
	v_add_u32_e32 v0, v0, v45
	ds_read_b32 v0, v0
	s_mov_b32 s4, 0x86d90545
	v_lshlrev_b64 v[7:8], 3, v[7:8]
	s_movk_i32 s5, 0xb64
	s_waitcnt vmcnt(3) lgkmcnt(5)
	v_mul_f32_e32 v18, v29, v34
	s_waitcnt lgkmcnt(4)
	v_mul_f32_e32 v31, v23, v36
	v_mul_f32_e32 v32, v14, v34
	;; [unrolled: 1-line block ×3, first 2 shown]
	v_fma_f32 v14, v14, v33, -v18
	v_fmac_f32_e32 v32, v33, v29
	v_fma_f32 v18, v16, v35, -v31
	v_fmac_f32_e32 v34, v35, v23
	v_add_f32_e32 v23, v27, v14
	v_sub_f32_e32 v31, v14, v18
	s_waitcnt vmcnt(2)
	v_mul_f32_e32 v36, v28, v38
	v_mul_f32_e32 v47, v22, v40
	;; [unrolled: 1-line block ×4, first 2 shown]
	v_fmac_f32_e32 v38, v37, v28
	v_fmac_f32_e32 v40, v39, v22
	v_fma_f32 v29, v13, v37, -v36
	v_fma_f32 v35, v15, v39, -v47
	s_waitcnt lgkmcnt(3)
	v_add_f32_e32 v15, v32, v21
	v_add_f32_e32 v28, v38, v40
	;; [unrolled: 1-line block ×4, first 2 shown]
	s_waitcnt lgkmcnt(2)
	v_add_f32_e32 v36, v38, v19
	v_add_f32_e32 v16, v34, v15
	;; [unrolled: 1-line block ×3, first 2 shown]
	v_fma_f32 v19, -0.5, v28, v19
	v_add_f32_e32 v18, v29, v35
	v_sub_f32_e32 v33, v29, v35
	v_fma_f32 v14, -0.5, v13, v21
	v_fma_f32 v13, -0.5, v22, v27
	v_mov_b32_e32 v28, v19
	v_fma_f32 v18, -0.5, v18, v26
	v_sub_f32_e32 v32, v32, v34
	v_mov_b32_e32 v23, v14
	v_mov_b32_e32 v22, v13
	v_fmac_f32_e32 v19, 0xbf5db3d7, v33
	v_fmac_f32_e32 v28, 0x3f5db3d7, v33
	v_sub_f32_e32 v33, v38, v40
	v_mov_b32_e32 v27, v18
	v_fmac_f32_e32 v14, 0xbf5db3d7, v31
	v_fmac_f32_e32 v13, 0x3f5db3d7, v32
	;; [unrolled: 1-line block ×5, first 2 shown]
	ds_read2_b32 v[31:32], v17 offset0:12 offset1:255
	v_fmac_f32_e32 v18, 0x3f5db3d7, v33
	ds_read2_b32 v[33:34], v20 offset0:8 offset1:251
	v_add_f32_e32 v17, v26, v29
	v_add_f32_e32 v20, v17, v35
	s_waitcnt vmcnt(1) lgkmcnt(1)
	v_mul_f32_e32 v17, v32, v42
	v_fma_f32 v17, v12, v41, -v17
	s_waitcnt lgkmcnt(0)
	v_mul_f32_e32 v26, v34, v44
	v_fma_f32 v29, v10, v43, -v26
	v_mul_f32_e32 v12, v12, v42
	v_mul_f32_e32 v10, v10, v44
	v_fmac_f32_e32 v12, v41, v32
	v_fmac_f32_e32 v10, v43, v34
	v_add_f32_e32 v32, v12, v10
	v_fma_f32 v35, -0.5, v32, v0
	v_sub_f32_e32 v26, v17, v29
	v_mov_b32_e32 v37, v35
	v_add_f32_e32 v0, v12, v0
	v_fmac_f32_e32 v37, 0x3f5db3d7, v26
	v_fmac_f32_e32 v35, 0xbf5db3d7, v26
	v_add_f32_e32 v26, v10, v0
	v_add_f32_e32 v0, v17, v29
	v_fma_f32 v34, -0.5, v0, v25
	v_add_f32_e32 v21, v40, v36
	v_sub_f32_e32 v0, v12, v10
	v_mov_b32_e32 v36, v34
	v_fmac_f32_e32 v36, 0xbf5db3d7, v0
	v_fmac_f32_e32 v34, 0x3f5db3d7, v0
	v_add_f32_e32 v0, v25, v17
	v_add_f32_e32 v25, v0, v29
	s_waitcnt vmcnt(0)
	v_mul_f32_e32 v0, v31, v4
	v_fma_f32 v17, v11, v3, -v0
	v_mul_f32_e32 v0, v33, v6
	v_fma_f32 v29, v9, v5, -v0
	v_mul_f32_e32 v32, v11, v4
	v_mul_f32_e32 v9, v9, v6
	v_fmac_f32_e32 v32, v3, v31
	v_fmac_f32_e32 v9, v5, v33
	v_add_f32_e32 v3, v32, v9
	v_fma_f32 v4, -0.5, v3, v46
	v_mul_hi_u32 v5, v30, s4
	v_sub_f32_e32 v0, v17, v29
	v_mov_b32_e32 v6, v4
	v_fmac_f32_e32 v6, 0x3f5db3d7, v0
	v_fmac_f32_e32 v4, 0xbf5db3d7, v0
	v_add_f32_e32 v0, v32, v46
	v_add_f32_e32 v10, v9, v0
	;; [unrolled: 1-line block ×3, first 2 shown]
	v_fma_f32 v3, -0.5, v0, v24
	v_lshrrev_b32_e32 v0, 9, v5
	v_mul_u32_u24_e32 v0, 0x3cc, v0
	v_sub_u32_e32 v33, v30, v0
	v_mad_u64_u32 v[11:12], s[0:1], s2, v33, 0
	v_sub_f32_e32 v9, v32, v9
	v_mov_b32_e32 v5, v3
	v_mov_b32_e32 v0, v12
	v_mad_u64_u32 v[31:32], s[0:1], s3, v33, v[0:1]
	v_add_f32_e32 v0, v24, v17
	v_fmac_f32_e32 v5, 0xbf5db3d7, v9
	v_fmac_f32_e32 v3, 0x3f5db3d7, v9
	v_add_f32_e32 v9, v0, v29
	v_mov_b32_e32 v0, s11
	v_add_co_u32_e32 v17, vcc, s10, v7
	v_add_u32_e32 v29, 0x3cc, v33
	v_addc_co_u32_e32 v24, vcc, v0, v8, vcc
	v_mad_u64_u32 v[7:8], s[0:1], s2, v29, 0
	v_lshlrev_b64 v[0:1], 3, v[1:2]
	v_mov_b32_e32 v12, v31
	v_add_co_u32_e32 v17, vcc, v17, v0
	v_mov_b32_e32 v2, v8
	v_addc_co_u32_e32 v24, vcc, v24, v1, vcc
	v_lshlrev_b64 v[0:1], 3, v[11:12]
	v_mad_u64_u32 v[11:12], s[0:1], s3, v29, v[2:3]
	v_add_co_u32_e32 v0, vcc, v17, v0
	v_addc_co_u32_e32 v1, vcc, v24, v1, vcc
	global_store_dwordx2 v[0:1], v[9:10], off
	v_mov_b32_e32 v8, v11
	v_add_u32_e32 v9, 0x798, v33
	v_lshlrev_b64 v[0:1], 3, v[7:8]
	v_mad_u64_u32 v[7:8], s[0:1], s2, v9, 0
	v_add_co_u32_e32 v0, vcc, v17, v0
	v_mov_b32_e32 v2, v8
	v_mad_u64_u32 v[8:9], s[0:1], s3, v9, v[2:3]
	v_add_u32_e32 v2, 0xf3, v30
	v_mul_hi_u32 v9, v2, s4
	v_addc_co_u32_e32 v1, vcc, v24, v1, vcc
	global_store_dwordx2 v[0:1], v[3:4], off
	v_lshrrev_b32_e32 v3, 9, v9
	v_mul_u32_u24_e32 v4, 0x3cc, v3
	v_sub_u32_e32 v2, v2, v4
	v_mad_u32_u24 v9, v3, s5, v2
	v_mad_u64_u32 v[2:3], s[0:1], s2, v9, 0
	v_lshlrev_b64 v[0:1], 3, v[7:8]
	v_mad_u64_u32 v[3:4], s[0:1], s3, v9, v[3:4]
	v_add_u32_e32 v4, 0x3cc, v9
	v_mad_u64_u32 v[7:8], s[0:1], s2, v4, 0
	v_add_co_u32_e32 v0, vcc, v17, v0
	v_addc_co_u32_e32 v1, vcc, v24, v1, vcc
	global_store_dwordx2 v[0:1], v[5:6], off
	v_lshlrev_b64 v[0:1], 3, v[2:3]
	v_mov_b32_e32 v2, v8
	v_mad_u64_u32 v[2:3], s[0:1], s3, v4, v[2:3]
	v_add_u32_e32 v4, 0x798, v9
	v_add_co_u32_e32 v0, vcc, v17, v0
	v_mov_b32_e32 v8, v2
	v_mad_u64_u32 v[2:3], s[0:1], s2, v4, 0
	v_addc_co_u32_e32 v1, vcc, v24, v1, vcc
	v_mad_u64_u32 v[3:4], s[0:1], s3, v4, v[3:4]
	v_add_u32_e32 v4, 0x1e6, v30
	global_store_dwordx2 v[0:1], v[25:26], off
	v_lshlrev_b64 v[0:1], 3, v[7:8]
	v_mul_hi_u32 v5, v4, s4
	v_add_co_u32_e32 v0, vcc, v17, v0
	v_addc_co_u32_e32 v1, vcc, v24, v1, vcc
	global_store_dwordx2 v[0:1], v[34:35], off
	v_lshlrev_b64 v[0:1], 3, v[2:3]
	v_lshrrev_b32_e32 v2, 9, v5
	v_mul_u32_u24_e32 v3, 0x3cc, v2
	v_sub_u32_e32 v3, v4, v3
	v_mad_u32_u24 v6, v2, s5, v3
	v_mad_u64_u32 v[2:3], s[0:1], s2, v6, 0
	v_add_u32_e32 v7, 0x3cc, v6
	v_add_co_u32_e32 v0, vcc, v17, v0
	v_mad_u64_u32 v[3:4], s[0:1], s3, v6, v[3:4]
	v_mad_u64_u32 v[4:5], s[0:1], s2, v7, 0
	v_addc_co_u32_e32 v1, vcc, v24, v1, vcc
	global_store_dwordx2 v[0:1], v[36:37], off
	v_lshlrev_b64 v[0:1], 3, v[2:3]
	v_mov_b32_e32 v2, v5
	v_mad_u64_u32 v[2:3], s[0:1], s3, v7, v[2:3]
	v_add_co_u32_e32 v0, vcc, v17, v0
	v_addc_co_u32_e32 v1, vcc, v24, v1, vcc
	v_mov_b32_e32 v5, v2
	global_store_dwordx2 v[0:1], v[20:21], off
	v_lshlrev_b64 v[0:1], 3, v[4:5]
	v_add_u32_e32 v4, 0x798, v6
	v_mad_u64_u32 v[2:3], s[0:1], s2, v4, 0
	v_add_u32_e32 v5, 0x2d9, v30
	v_mul_hi_u32 v6, v5, s4
	v_mad_u64_u32 v[3:4], s[0:1], s3, v4, v[3:4]
	v_add_co_u32_e32 v0, vcc, v17, v0
	v_lshrrev_b32_e32 v4, 9, v6
	v_mul_u32_u24_e32 v6, 0x3cc, v4
	v_sub_u32_e32 v5, v5, v6
	v_mad_u32_u24 v6, v4, s5, v5
	v_mad_u64_u32 v[4:5], s[0:1], s2, v6, 0
	v_addc_co_u32_e32 v1, vcc, v24, v1, vcc
	global_store_dwordx2 v[0:1], v[18:19], off
	v_lshlrev_b64 v[0:1], 3, v[2:3]
	v_mov_b32_e32 v2, v5
	v_mad_u64_u32 v[2:3], s[0:1], s3, v6, v[2:3]
	v_add_co_u32_e32 v0, vcc, v17, v0
	v_addc_co_u32_e32 v1, vcc, v24, v1, vcc
	v_mov_b32_e32 v5, v2
	global_store_dwordx2 v[0:1], v[27:28], off
	v_lshlrev_b64 v[0:1], 3, v[4:5]
	v_add_u32_e32 v4, 0x3cc, v6
	v_mad_u64_u32 v[2:3], s[0:1], s2, v4, 0
	v_add_u32_e32 v6, 0x798, v6
	v_add_co_u32_e32 v0, vcc, v17, v0
	v_mad_u64_u32 v[3:4], s[0:1], s3, v4, v[3:4]
	v_mad_u64_u32 v[4:5], s[0:1], s2, v6, 0
	v_addc_co_u32_e32 v1, vcc, v24, v1, vcc
	global_store_dwordx2 v[0:1], v[15:16], off
	v_lshlrev_b64 v[0:1], 3, v[2:3]
	v_mov_b32_e32 v2, v5
	v_mad_u64_u32 v[2:3], s[0:1], s3, v6, v[2:3]
	v_add_co_u32_e32 v0, vcc, v17, v0
	v_addc_co_u32_e32 v1, vcc, v24, v1, vcc
	v_mov_b32_e32 v5, v2
	global_store_dwordx2 v[0:1], v[13:14], off
	v_lshlrev_b64 v[0:1], 3, v[4:5]
	v_add_co_u32_e32 v0, vcc, v17, v0
	v_addc_co_u32_e32 v1, vcc, v24, v1, vcc
	global_store_dwordx2 v[0:1], v[22:23], off
.LBB0_15:
	s_endpgm
	.section	.rodata,"a",@progbits
	.p2align	6, 0x0
	.amdhsa_kernel fft_rtc_fwd_len2916_factors_6_6_3_3_3_3_wgs_243_tpt_243_halfLds_sp_op_CI_CI_sbrr_dirReg
		.amdhsa_group_segment_fixed_size 0
		.amdhsa_private_segment_fixed_size 0
		.amdhsa_kernarg_size 104
		.amdhsa_user_sgpr_count 6
		.amdhsa_user_sgpr_private_segment_buffer 1
		.amdhsa_user_sgpr_dispatch_ptr 0
		.amdhsa_user_sgpr_queue_ptr 0
		.amdhsa_user_sgpr_kernarg_segment_ptr 1
		.amdhsa_user_sgpr_dispatch_id 0
		.amdhsa_user_sgpr_flat_scratch_init 0
		.amdhsa_user_sgpr_private_segment_size 0
		.amdhsa_uses_dynamic_stack 0
		.amdhsa_system_sgpr_private_segment_wavefront_offset 0
		.amdhsa_system_sgpr_workgroup_id_x 1
		.amdhsa_system_sgpr_workgroup_id_y 0
		.amdhsa_system_sgpr_workgroup_id_z 0
		.amdhsa_system_sgpr_workgroup_info 0
		.amdhsa_system_vgpr_workitem_id 0
		.amdhsa_next_free_vgpr 60
		.amdhsa_next_free_sgpr 32
		.amdhsa_reserve_vcc 1
		.amdhsa_reserve_flat_scratch 0
		.amdhsa_float_round_mode_32 0
		.amdhsa_float_round_mode_16_64 0
		.amdhsa_float_denorm_mode_32 3
		.amdhsa_float_denorm_mode_16_64 3
		.amdhsa_dx10_clamp 1
		.amdhsa_ieee_mode 1
		.amdhsa_fp16_overflow 0
		.amdhsa_exception_fp_ieee_invalid_op 0
		.amdhsa_exception_fp_denorm_src 0
		.amdhsa_exception_fp_ieee_div_zero 0
		.amdhsa_exception_fp_ieee_overflow 0
		.amdhsa_exception_fp_ieee_underflow 0
		.amdhsa_exception_fp_ieee_inexact 0
		.amdhsa_exception_int_div_zero 0
	.end_amdhsa_kernel
	.text
.Lfunc_end0:
	.size	fft_rtc_fwd_len2916_factors_6_6_3_3_3_3_wgs_243_tpt_243_halfLds_sp_op_CI_CI_sbrr_dirReg, .Lfunc_end0-fft_rtc_fwd_len2916_factors_6_6_3_3_3_3_wgs_243_tpt_243_halfLds_sp_op_CI_CI_sbrr_dirReg
                                        ; -- End function
	.section	.AMDGPU.csdata,"",@progbits
; Kernel info:
; codeLenInByte = 8840
; NumSgprs: 36
; NumVgprs: 60
; ScratchSize: 0
; MemoryBound: 0
; FloatMode: 240
; IeeeMode: 1
; LDSByteSize: 0 bytes/workgroup (compile time only)
; SGPRBlocks: 4
; VGPRBlocks: 14
; NumSGPRsForWavesPerEU: 36
; NumVGPRsForWavesPerEU: 60
; Occupancy: 4
; WaveLimiterHint : 1
; COMPUTE_PGM_RSRC2:SCRATCH_EN: 0
; COMPUTE_PGM_RSRC2:USER_SGPR: 6
; COMPUTE_PGM_RSRC2:TRAP_HANDLER: 0
; COMPUTE_PGM_RSRC2:TGID_X_EN: 1
; COMPUTE_PGM_RSRC2:TGID_Y_EN: 0
; COMPUTE_PGM_RSRC2:TGID_Z_EN: 0
; COMPUTE_PGM_RSRC2:TIDIG_COMP_CNT: 0
	.type	__hip_cuid_f83bb72979c41dad,@object ; @__hip_cuid_f83bb72979c41dad
	.section	.bss,"aw",@nobits
	.globl	__hip_cuid_f83bb72979c41dad
__hip_cuid_f83bb72979c41dad:
	.byte	0                               ; 0x0
	.size	__hip_cuid_f83bb72979c41dad, 1

	.ident	"AMD clang version 19.0.0git (https://github.com/RadeonOpenCompute/llvm-project roc-6.4.0 25133 c7fe45cf4b819c5991fe208aaa96edf142730f1d)"
	.section	".note.GNU-stack","",@progbits
	.addrsig
	.addrsig_sym __hip_cuid_f83bb72979c41dad
	.amdgpu_metadata
---
amdhsa.kernels:
  - .args:
      - .actual_access:  read_only
        .address_space:  global
        .offset:         0
        .size:           8
        .value_kind:     global_buffer
      - .offset:         8
        .size:           8
        .value_kind:     by_value
      - .actual_access:  read_only
        .address_space:  global
        .offset:         16
        .size:           8
        .value_kind:     global_buffer
      - .actual_access:  read_only
        .address_space:  global
        .offset:         24
        .size:           8
        .value_kind:     global_buffer
      - .actual_access:  read_only
        .address_space:  global
        .offset:         32
        .size:           8
        .value_kind:     global_buffer
      - .offset:         40
        .size:           8
        .value_kind:     by_value
      - .actual_access:  read_only
        .address_space:  global
        .offset:         48
        .size:           8
        .value_kind:     global_buffer
      - .actual_access:  read_only
        .address_space:  global
        .offset:         56
        .size:           8
        .value_kind:     global_buffer
      - .offset:         64
        .size:           4
        .value_kind:     by_value
      - .actual_access:  read_only
        .address_space:  global
        .offset:         72
        .size:           8
        .value_kind:     global_buffer
      - .actual_access:  read_only
        .address_space:  global
        .offset:         80
        .size:           8
        .value_kind:     global_buffer
      - .actual_access:  read_only
        .address_space:  global
        .offset:         88
        .size:           8
        .value_kind:     global_buffer
      - .actual_access:  write_only
        .address_space:  global
        .offset:         96
        .size:           8
        .value_kind:     global_buffer
    .group_segment_fixed_size: 0
    .kernarg_segment_align: 8
    .kernarg_segment_size: 104
    .language:       OpenCL C
    .language_version:
      - 2
      - 0
    .max_flat_workgroup_size: 243
    .name:           fft_rtc_fwd_len2916_factors_6_6_3_3_3_3_wgs_243_tpt_243_halfLds_sp_op_CI_CI_sbrr_dirReg
    .private_segment_fixed_size: 0
    .sgpr_count:     36
    .sgpr_spill_count: 0
    .symbol:         fft_rtc_fwd_len2916_factors_6_6_3_3_3_3_wgs_243_tpt_243_halfLds_sp_op_CI_CI_sbrr_dirReg.kd
    .uniform_work_group_size: 1
    .uses_dynamic_stack: false
    .vgpr_count:     60
    .vgpr_spill_count: 0
    .wavefront_size: 64
amdhsa.target:   amdgcn-amd-amdhsa--gfx906
amdhsa.version:
  - 1
  - 2
...

	.end_amdgpu_metadata
